;; amdgpu-corpus repo=ROCm/rocFFT kind=compiled arch=gfx1030 opt=O3
	.text
	.amdgcn_target "amdgcn-amd-amdhsa--gfx1030"
	.amdhsa_code_object_version 6
	.protected	fft_rtc_back_len1287_factors_3_13_3_11_wgs_117_tpt_117_half_ip_CI_unitstride_sbrr_dirReg ; -- Begin function fft_rtc_back_len1287_factors_3_13_3_11_wgs_117_tpt_117_half_ip_CI_unitstride_sbrr_dirReg
	.globl	fft_rtc_back_len1287_factors_3_13_3_11_wgs_117_tpt_117_half_ip_CI_unitstride_sbrr_dirReg
	.p2align	8
	.type	fft_rtc_back_len1287_factors_3_13_3_11_wgs_117_tpt_117_half_ip_CI_unitstride_sbrr_dirReg,@function
fft_rtc_back_len1287_factors_3_13_3_11_wgs_117_tpt_117_half_ip_CI_unitstride_sbrr_dirReg: ; @fft_rtc_back_len1287_factors_3_13_3_11_wgs_117_tpt_117_half_ip_CI_unitstride_sbrr_dirReg
; %bb.0:
	s_clause 0x2
	s_load_dwordx4 s[8:11], s[4:5], 0x0
	s_load_dwordx2 s[2:3], s[4:5], 0x50
	s_load_dwordx2 s[12:13], s[4:5], 0x18
	v_mul_u32_u24_e32 v1, 0x231, v0
	v_mov_b32_e32 v3, 0
	v_add_nc_u32_sdwa v5, s6, v1 dst_sel:DWORD dst_unused:UNUSED_PAD src0_sel:DWORD src1_sel:WORD_1
	v_mov_b32_e32 v1, 0
	v_mov_b32_e32 v6, v3
	v_mov_b32_e32 v2, 0
	s_waitcnt lgkmcnt(0)
	v_cmp_lt_u64_e64 s0, s[10:11], 2
	s_and_b32 vcc_lo, exec_lo, s0
	s_cbranch_vccnz .LBB0_8
; %bb.1:
	s_load_dwordx2 s[0:1], s[4:5], 0x10
	v_mov_b32_e32 v1, 0
	s_add_u32 s6, s12, 8
	v_mov_b32_e32 v2, 0
	s_addc_u32 s7, s13, 0
	s_mov_b64 s[16:17], 1
	s_waitcnt lgkmcnt(0)
	s_add_u32 s14, s0, 8
	s_addc_u32 s15, s1, 0
.LBB0_2:                                ; =>This Inner Loop Header: Depth=1
	s_load_dwordx2 s[18:19], s[14:15], 0x0
                                        ; implicit-def: $vgpr7_vgpr8
	s_mov_b32 s0, exec_lo
	s_waitcnt lgkmcnt(0)
	v_or_b32_e32 v4, s19, v6
	v_cmpx_ne_u64_e32 0, v[3:4]
	s_xor_b32 s1, exec_lo, s0
	s_cbranch_execz .LBB0_4
; %bb.3:                                ;   in Loop: Header=BB0_2 Depth=1
	v_cvt_f32_u32_e32 v4, s18
	v_cvt_f32_u32_e32 v7, s19
	s_sub_u32 s0, 0, s18
	s_subb_u32 s20, 0, s19
	v_fmac_f32_e32 v4, 0x4f800000, v7
	v_rcp_f32_e32 v4, v4
	v_mul_f32_e32 v4, 0x5f7ffffc, v4
	v_mul_f32_e32 v7, 0x2f800000, v4
	v_trunc_f32_e32 v7, v7
	v_fmac_f32_e32 v4, 0xcf800000, v7
	v_cvt_u32_f32_e32 v7, v7
	v_cvt_u32_f32_e32 v4, v4
	v_mul_lo_u32 v8, s0, v7
	v_mul_hi_u32 v9, s0, v4
	v_mul_lo_u32 v10, s20, v4
	v_add_nc_u32_e32 v8, v9, v8
	v_mul_lo_u32 v9, s0, v4
	v_add_nc_u32_e32 v8, v8, v10
	v_mul_hi_u32 v10, v4, v9
	v_mul_lo_u32 v11, v4, v8
	v_mul_hi_u32 v12, v4, v8
	v_mul_hi_u32 v13, v7, v9
	v_mul_lo_u32 v9, v7, v9
	v_mul_hi_u32 v14, v7, v8
	v_mul_lo_u32 v8, v7, v8
	v_add_co_u32 v10, vcc_lo, v10, v11
	v_add_co_ci_u32_e32 v11, vcc_lo, 0, v12, vcc_lo
	v_add_co_u32 v9, vcc_lo, v10, v9
	v_add_co_ci_u32_e32 v9, vcc_lo, v11, v13, vcc_lo
	v_add_co_ci_u32_e32 v10, vcc_lo, 0, v14, vcc_lo
	v_add_co_u32 v8, vcc_lo, v9, v8
	v_add_co_ci_u32_e32 v9, vcc_lo, 0, v10, vcc_lo
	v_add_co_u32 v4, vcc_lo, v4, v8
	v_add_co_ci_u32_e32 v7, vcc_lo, v7, v9, vcc_lo
	v_mul_hi_u32 v8, s0, v4
	v_mul_lo_u32 v10, s20, v4
	v_mul_lo_u32 v9, s0, v7
	v_add_nc_u32_e32 v8, v8, v9
	v_mul_lo_u32 v9, s0, v4
	v_add_nc_u32_e32 v8, v8, v10
	v_mul_hi_u32 v10, v4, v9
	v_mul_lo_u32 v11, v4, v8
	v_mul_hi_u32 v12, v4, v8
	v_mul_hi_u32 v13, v7, v9
	v_mul_lo_u32 v9, v7, v9
	v_mul_hi_u32 v14, v7, v8
	v_mul_lo_u32 v8, v7, v8
	v_add_co_u32 v10, vcc_lo, v10, v11
	v_add_co_ci_u32_e32 v11, vcc_lo, 0, v12, vcc_lo
	v_add_co_u32 v9, vcc_lo, v10, v9
	v_add_co_ci_u32_e32 v9, vcc_lo, v11, v13, vcc_lo
	v_add_co_ci_u32_e32 v10, vcc_lo, 0, v14, vcc_lo
	v_add_co_u32 v8, vcc_lo, v9, v8
	v_add_co_ci_u32_e32 v9, vcc_lo, 0, v10, vcc_lo
	v_add_co_u32 v4, vcc_lo, v4, v8
	v_add_co_ci_u32_e32 v11, vcc_lo, v7, v9, vcc_lo
	v_mul_hi_u32 v13, v5, v4
	v_mad_u64_u32 v[9:10], null, v6, v4, 0
	v_mad_u64_u32 v[7:8], null, v5, v11, 0
	;; [unrolled: 1-line block ×3, first 2 shown]
	v_add_co_u32 v4, vcc_lo, v13, v7
	v_add_co_ci_u32_e32 v7, vcc_lo, 0, v8, vcc_lo
	v_add_co_u32 v4, vcc_lo, v4, v9
	v_add_co_ci_u32_e32 v4, vcc_lo, v7, v10, vcc_lo
	v_add_co_ci_u32_e32 v7, vcc_lo, 0, v12, vcc_lo
	v_add_co_u32 v4, vcc_lo, v4, v11
	v_add_co_ci_u32_e32 v9, vcc_lo, 0, v7, vcc_lo
	v_mul_lo_u32 v10, s19, v4
	v_mad_u64_u32 v[7:8], null, s18, v4, 0
	v_mul_lo_u32 v11, s18, v9
	v_sub_co_u32 v7, vcc_lo, v5, v7
	v_add3_u32 v8, v8, v11, v10
	v_sub_nc_u32_e32 v10, v6, v8
	v_subrev_co_ci_u32_e64 v10, s0, s19, v10, vcc_lo
	v_add_co_u32 v11, s0, v4, 2
	v_add_co_ci_u32_e64 v12, s0, 0, v9, s0
	v_sub_co_u32 v13, s0, v7, s18
	v_sub_co_ci_u32_e32 v8, vcc_lo, v6, v8, vcc_lo
	v_subrev_co_ci_u32_e64 v10, s0, 0, v10, s0
	v_cmp_le_u32_e32 vcc_lo, s18, v13
	v_cmp_eq_u32_e64 s0, s19, v8
	v_cndmask_b32_e64 v13, 0, -1, vcc_lo
	v_cmp_le_u32_e32 vcc_lo, s19, v10
	v_cndmask_b32_e64 v14, 0, -1, vcc_lo
	v_cmp_le_u32_e32 vcc_lo, s18, v7
	;; [unrolled: 2-line block ×3, first 2 shown]
	v_cndmask_b32_e64 v15, 0, -1, vcc_lo
	v_cmp_eq_u32_e32 vcc_lo, s19, v10
	v_cndmask_b32_e64 v7, v15, v7, s0
	v_cndmask_b32_e32 v10, v14, v13, vcc_lo
	v_add_co_u32 v13, vcc_lo, v4, 1
	v_add_co_ci_u32_e32 v14, vcc_lo, 0, v9, vcc_lo
	v_cmp_ne_u32_e32 vcc_lo, 0, v10
	v_cndmask_b32_e32 v8, v14, v12, vcc_lo
	v_cndmask_b32_e32 v10, v13, v11, vcc_lo
	v_cmp_ne_u32_e32 vcc_lo, 0, v7
	v_cndmask_b32_e32 v8, v9, v8, vcc_lo
	v_cndmask_b32_e32 v7, v4, v10, vcc_lo
.LBB0_4:                                ;   in Loop: Header=BB0_2 Depth=1
	s_andn2_saveexec_b32 s0, s1
	s_cbranch_execz .LBB0_6
; %bb.5:                                ;   in Loop: Header=BB0_2 Depth=1
	v_cvt_f32_u32_e32 v4, s18
	s_sub_i32 s1, 0, s18
	v_rcp_iflag_f32_e32 v4, v4
	v_mul_f32_e32 v4, 0x4f7ffffe, v4
	v_cvt_u32_f32_e32 v4, v4
	v_mul_lo_u32 v7, s1, v4
	v_mul_hi_u32 v7, v4, v7
	v_add_nc_u32_e32 v4, v4, v7
	v_mul_hi_u32 v4, v5, v4
	v_mul_lo_u32 v7, v4, s18
	v_add_nc_u32_e32 v8, 1, v4
	v_sub_nc_u32_e32 v7, v5, v7
	v_subrev_nc_u32_e32 v9, s18, v7
	v_cmp_le_u32_e32 vcc_lo, s18, v7
	v_cndmask_b32_e32 v7, v7, v9, vcc_lo
	v_cndmask_b32_e32 v4, v4, v8, vcc_lo
	v_cmp_le_u32_e32 vcc_lo, s18, v7
	v_add_nc_u32_e32 v8, 1, v4
	v_cndmask_b32_e32 v7, v4, v8, vcc_lo
	v_mov_b32_e32 v8, v3
.LBB0_6:                                ;   in Loop: Header=BB0_2 Depth=1
	s_or_b32 exec_lo, exec_lo, s0
	s_load_dwordx2 s[0:1], s[6:7], 0x0
	v_mul_lo_u32 v4, v8, s18
	v_mul_lo_u32 v11, v7, s19
	v_mad_u64_u32 v[9:10], null, v7, s18, 0
	s_add_u32 s16, s16, 1
	s_addc_u32 s17, s17, 0
	s_add_u32 s6, s6, 8
	s_addc_u32 s7, s7, 0
	;; [unrolled: 2-line block ×3, first 2 shown]
	v_add3_u32 v4, v10, v11, v4
	v_sub_co_u32 v5, vcc_lo, v5, v9
	v_sub_co_ci_u32_e32 v4, vcc_lo, v6, v4, vcc_lo
	s_waitcnt lgkmcnt(0)
	v_mul_lo_u32 v6, s1, v5
	v_mul_lo_u32 v4, s0, v4
	v_mad_u64_u32 v[1:2], null, s0, v5, v[1:2]
	v_cmp_ge_u64_e64 s0, s[16:17], s[10:11]
	s_and_b32 vcc_lo, exec_lo, s0
	v_add3_u32 v2, v6, v2, v4
	s_cbranch_vccnz .LBB0_9
; %bb.7:                                ;   in Loop: Header=BB0_2 Depth=1
	v_mov_b32_e32 v5, v7
	v_mov_b32_e32 v6, v8
	s_branch .LBB0_2
.LBB0_8:
	v_mov_b32_e32 v8, v6
	v_mov_b32_e32 v7, v5
.LBB0_9:
	s_lshl_b64 s[0:1], s[10:11], 3
	v_mul_hi_u32 v3, 0x2302303, v0
	s_add_u32 s0, s12, s0
	s_addc_u32 s1, s13, s1
                                        ; implicit-def: $vgpr10
                                        ; implicit-def: $vgpr20
                                        ; implicit-def: $vgpr13
                                        ; implicit-def: $vgpr17
                                        ; implicit-def: $vgpr21
                                        ; implicit-def: $vgpr19
                                        ; implicit-def: $vgpr11
                                        ; implicit-def: $vgpr12
                                        ; implicit-def: $vgpr14
                                        ; implicit-def: $vgpr16
                                        ; implicit-def: $vgpr15
                                        ; implicit-def: $vgpr18
	s_load_dwordx2 s[0:1], s[0:1], 0x0
	s_load_dwordx2 s[4:5], s[4:5], 0x20
	v_mul_u32_u24_e32 v3, 0x75, v3
	v_sub_nc_u32_e32 v3, v0, v3
	s_waitcnt lgkmcnt(0)
	v_mul_lo_u32 v4, s0, v8
	v_mul_lo_u32 v5, s1, v7
	v_mad_u64_u32 v[1:2], null, s0, v7, v[1:2]
	v_cmp_gt_u64_e32 vcc_lo, s[4:5], v[7:8]
	v_add3_u32 v2, v5, v2, v4
	v_lshlrev_b64 v[0:1], 2, v[1:2]
	v_mov_b32_e32 v2, 0
	s_and_saveexec_b32 s1, vcc_lo
	s_cbranch_execz .LBB0_13
; %bb.10:
	v_mov_b32_e32 v4, 0
	v_add_co_u32 v2, s0, s2, v0
	v_add_co_ci_u32_e64 v6, s0, s3, v1, s0
	v_lshlrev_b64 v[4:5], 2, v[3:4]
	s_mov_b32 s4, exec_lo
                                        ; implicit-def: $vgpr19
                                        ; implicit-def: $vgpr21
                                        ; implicit-def: $vgpr17
	v_add_co_u32 v4, s0, v2, v4
	v_add_co_ci_u32_e64 v5, s0, v6, v5, s0
	s_clause 0x1
	global_load_dword v10, v[4:5], off
	global_load_dword v11, v[4:5], off offset:468
	v_add_co_u32 v6, s0, 0x800, v4
	v_add_co_ci_u32_e64 v7, s0, 0, v5, s0
	v_add_co_u32 v8, s0, 0x1000, v4
	v_add_co_ci_u32_e64 v9, s0, 0, v5, s0
	s_clause 0x6
	global_load_dword v12, v[6:7], off offset:136
	global_load_dword v14, v[6:7], off offset:1852
	;; [unrolled: 1-line block ×7, first 2 shown]
	v_cmpx_gt_u32_e32 0x4e, v3
; %bb.11:
	s_clause 0x2
	global_load_dword v19, v[4:5], off offset:1404
	global_load_dword v21, v[6:7], off offset:1072
	global_load_dword v17, v[8:9], off offset:740
; %bb.12:
	s_or_b32 exec_lo, exec_lo, s4
	v_mov_b32_e32 v2, v3
.LBB0_13:
	s_or_b32 exec_lo, exec_lo, s1
	s_waitcnt vmcnt(2)
	v_pk_add_f16 v4, v20, v13
	v_pk_add_f16 v5, v20, v13 neg_lo:[0,1] neg_hi:[0,1]
	v_pk_add_f16 v7, v10, v20
	s_waitcnt vmcnt(0)
	v_pk_add_f16 v9, v17, v21
	v_pk_add_f16 v20, v21, v17 neg_lo:[0,1] neg_hi:[0,1]
	v_pk_fma_f16 v4, v4, 0.5, v10 op_sel_hi:[1,0,1] neg_lo:[1,0,0] neg_hi:[1,0,0]
	v_pk_mul_f16 v5, 0x3aee, v5 op_sel_hi:[0,1]
	v_pk_add_f16 v8, v21, v19
	v_mad_u32_u24 v6, v3, 12, 0
	v_pk_fma_f16 v19, v9, 0.5, v19 op_sel_hi:[1,0,1] neg_lo:[1,0,0] neg_hi:[1,0,0]
	v_pk_mul_f16 v20, 0x3aee, v20 op_sel_hi:[0,1]
	v_pk_add_f16 v10, v5, v4 op_sel:[1,0] op_sel_hi:[0,1]
	v_pk_add_f16 v5, v4, v5 op_sel:[0,1] op_sel_hi:[1,0] neg_lo:[0,1] neg_hi:[0,1]
	v_pk_add_f16 v4, v7, v13
	v_pk_add_f16 v21, v12, v14
	;; [unrolled: 1-line block ×3, first 2 shown]
	v_pk_add_f16 v7, v20, v19 op_sel:[1,0] op_sel_hi:[0,1]
	v_bfi_b32 v13, 0xffff, v5, v10
	v_bfi_b32 v8, 0xffff, v10, v5
	v_pk_add_f16 v17, v19, v20 op_sel:[0,1] op_sel_hi:[1,0] neg_lo:[0,1] neg_hi:[0,1]
	v_pk_add_f16 v19, v16, v15
	v_pk_add_f16 v20, v15, v16 neg_lo:[0,1] neg_hi:[0,1]
	ds_write2_b32 v6, v4, v13 offset1:1
	v_pk_add_f16 v13, v12, v14 neg_lo:[0,1] neg_hi:[0,1]
	ds_write_b32 v6, v8 offset:8
	v_pk_fma_f16 v8, v21, 0.5, v11 op_sel_hi:[1,0,1] neg_lo:[1,0,0] neg_hi:[1,0,0]
	v_pk_add_f16 v11, v11, v12
	v_pk_fma_f16 v19, v19, 0.5, v18 op_sel_hi:[1,0,1] neg_lo:[1,0,0] neg_hi:[1,0,0]
	v_pk_mul_f16 v21, 0x3aee, v13 op_sel_hi:[0,1]
	v_pk_mul_f16 v20, 0x3aee, v20 op_sel_hi:[0,1]
	v_add_nc_u32_e32 v22, 0x57c, v6
	v_pk_add_f16 v11, v11, v14
	v_pk_add_f16 v14, v15, v18
	v_pk_add_f16 v13, v21, v8 op_sel:[1,0] op_sel_hi:[0,1]
	v_pk_add_f16 v12, v8, v21 op_sel:[0,1] op_sel_hi:[1,0] neg_lo:[0,1] neg_hi:[0,1]
	v_pk_add_f16 v8, v20, v19 op_sel:[1,0] op_sel_hi:[0,1]
	v_pk_add_f16 v15, v19, v20 op_sel:[0,1] op_sel_hi:[1,0] neg_lo:[0,1] neg_hi:[0,1]
	v_pk_add_f16 v14, v16, v14
	v_cmp_gt_u32_e64 s0, 0x4e, v3
	v_bfi_b32 v18, 0xffff, v12, v13
	v_bfi_b32 v19, 0xffff, v13, v12
	v_add_nc_u32_e32 v20, 0xaf8, v6
	v_bfi_b32 v16, 0xffff, v15, v8
	v_bfi_b32 v21, 0xffff, v8, v15
	ds_write2_b32 v22, v11, v18 offset1:1
	ds_write_b32 v6, v19 offset:1412
	ds_write2_b32 v20, v14, v16 offset1:1
	ds_write_b32 v6, v21 offset:2816
	s_and_saveexec_b32 s1, s0
	s_cbranch_execz .LBB0_15
; %bb.14:
	v_add_nc_u32_e32 v16, 0x1078, v6
	v_bfi_b32 v18, 0xffff, v7, v17
	v_bfi_b32 v19, 0xffff, v17, v7
	ds_write_b32 v6, v9 offset:4212
	ds_write2_b32 v16, v19, v18 offset1:1
.LBB0_15:
	s_or_b32 exec_lo, exec_lo, s1
	v_lshrrev_b32_e32 v34, 16, v5
	v_lshrrev_b32_e32 v35, 16, v12
	;; [unrolled: 1-line block ×3, first 2 shown]
	v_cmp_gt_u32_e64 s1, 0x63, v3
	v_lshrrev_b32_e32 v28, 16, v7
	v_lshrrev_b32_e32 v36, 16, v10
	;; [unrolled: 1-line block ×6, first 2 shown]
	s_waitcnt lgkmcnt(0)
	s_barrier
	buffer_gl0_inv
                                        ; implicit-def: $vgpr32
                                        ; implicit-def: $vgpr25
	s_and_saveexec_b32 s4, s1
	s_cbranch_execz .LBB0_17
; %bb.16:
	v_lshlrev_b32_e32 v4, 3, v3
	v_sub_nc_u32_e32 v6, v6, v4
	v_add_nc_u32_e32 v7, 0xc00, v6
	v_add_nc_u32_e32 v11, 0xe00, v6
	;; [unrolled: 1-line block ×5, first 2 shown]
	ds_read2_b32 v[4:5], v6 offset1:99
	ds_read_b32 v25, v6 offset:4752
	ds_read2_b32 v[8:9], v7 offset0:24 offset1:123
	ds_read2_b32 v[6:7], v11 offset0:94 offset1:193
	;; [unrolled: 1-line block ×5, first 2 shown]
	s_waitcnt lgkmcnt(4)
	v_lshrrev_b32_e32 v18, 16, v8
	s_waitcnt lgkmcnt(3)
	v_lshrrev_b32_e32 v28, 16, v6
	v_lshrrev_b32_e32 v36, 16, v5
	v_lshrrev_b32_e32 v32, 16, v25
	s_waitcnt lgkmcnt(2)
	v_lshrrev_b32_e32 v34, 16, v10
	v_lshrrev_b32_e32 v37, 16, v11
	s_waitcnt lgkmcnt(1)
	v_lshrrev_b32_e32 v38, 16, v12
	v_lshrrev_b32_e32 v35, 16, v13
	;; [unrolled: 3-line block ×3, first 2 shown]
	v_bfi_b32 v17, 0xffff, v6, v7
.LBB0_17:
	s_or_b32 exec_lo, exec_lo, s4
	v_and_b32_e32 v16, 0xff, v3
	v_mov_b32_e32 v20, 12
	v_lshrrev_b32_e32 v58, 16, v17
	v_lshrrev_b32_e32 v48, 16, v9
	v_mul_lo_u16 v6, 0xab, v16
	v_lshrrev_b16 v6, 9, v6
	v_mul_lo_u16 v19, v6, 3
	v_sub_nc_u16 v19, v3, v19
	v_mul_u32_u24_sdwa v20, v19, v20 dst_sel:DWORD dst_unused:UNUSED_PAD src0_sel:BYTE_0 src1_sel:DWORD
	v_lshlrev_b32_e32 v20, 2, v20
	s_clause 0x2
	global_load_dwordx4 v[42:45], v20, s[8:9]
	global_load_dwordx4 v[50:53], v20, s[8:9] offset:16
	global_load_dwordx4 v[54:57], v20, s[8:9] offset:32
	s_waitcnt vmcnt(0)
	s_barrier
	buffer_gl0_inv
	v_mul_f16_sdwa v46, v5, v42 dst_sel:DWORD dst_unused:UNUSED_PAD src0_sel:DWORD src1_sel:WORD_1
	v_mul_f16_sdwa v39, v36, v42 dst_sel:DWORD dst_unused:UNUSED_PAD src0_sel:DWORD src1_sel:WORD_1
	;; [unrolled: 1-line block ×12, first 2 shown]
	v_fma_f16 v49, v36, v42, -v46
	v_fmac_f16_e32 v21, v25, v57
	v_fma_f16 v25, v32, v57, -v68
	v_mul_f16_sdwa v59, v11, v44 dst_sel:DWORD dst_unused:UNUSED_PAD src0_sel:DWORD src1_sel:WORD_1
	v_mul_f16_sdwa v27, v40, v51 dst_sel:DWORD dst_unused:UNUSED_PAD src0_sel:DWORD src1_sel:WORD_1
	;; [unrolled: 1-line block ×5, first 2 shown]
	v_fmac_f16_e32 v33, v10, v43
	v_fma_f16 v47, v34, v43, -v47
	v_fmac_f16_e32 v39, v5, v42
	v_fmac_f16_e32 v29, v13, v50
	v_fma_f16 v43, v35, v50, -v61
	v_fma_f16 v42, v40, v51, -v62
	v_fmac_f16_e32 v24, v8, v53
	v_fma_f16 v40, v18, v53, -v64
	v_fma_f16 v34, v58, v56, -v67
	v_add_f16_e32 v53, v49, v25
	v_sub_f16_e32 v50, v49, v25
	v_mul_f16_sdwa v31, v37, v44 dst_sel:DWORD dst_unused:UNUSED_PAD src0_sel:DWORD src1_sel:WORD_1
	v_mul_f16_sdwa v30, v38, v45 dst_sel:DWORD dst_unused:UNUSED_PAD src0_sel:DWORD src1_sel:WORD_1
	;; [unrolled: 1-line block ×7, first 2 shown]
	v_fma_f16 v46, v37, v44, -v59
	v_fmac_f16_e32 v27, v14, v51
	v_fmac_f16_e32 v22, v17, v55
	v_fma_f16 v36, v28, v55, -v66
	v_fmac_f16_e32 v20, v7, v56
	v_add_f16_e32 v5, v39, v21
	v_sub_f16_e32 v8, v39, v21
	v_add_f16_e32 v55, v47, v34
	v_sub_f16_e32 v51, v47, v34
	v_mul_f16_e32 v73, 0xba95, v50
	v_mul_f16_e32 v76, 0x388b, v53
	;; [unrolled: 1-line block ×6, first 2 shown]
	v_fmac_f16_e32 v31, v11, v44
	v_fma_f16 v44, v38, v45, -v60
	v_fmac_f16_e32 v30, v12, v45
	v_fmac_f16_e32 v26, v15, v52
	v_fma_f16 v41, v41, v52, -v63
	v_fmac_f16_e32 v23, v9, v54
	v_fma_f16 v38, v48, v54, -v65
	v_add_f16_e32 v7, v33, v20
	v_sub_f16_e32 v9, v33, v20
	v_sub_f16_e32 v52, v46, v36
	v_add_f16_e32 v59, v46, v36
	v_mul_f16_e32 v69, 0xbb7b, v51
	v_mul_f16_e32 v77, 0xb5ac, v55
	;; [unrolled: 1-line block ×6, first 2 shown]
	v_fma_f16 v12, v5, 0x388b, -v73
	v_fmamk_f16 v13, v8, 0xba95, v76
	v_fma_f16 v14, v5, 0x2fb7, -v82
	v_fmamk_f16 v15, v8, 0xbbf1, v88
	;; [unrolled: 2-line block ×3, first 2 shown]
	v_add_f16_e32 v10, v31, v22
	v_sub_f16_e32 v11, v31, v22
	v_sub_f16_e32 v54, v44, v38
	v_add_f16_e32 v58, v44, v38
	v_mul_f16_e32 v68, 0xb3a8, v52
	v_mul_f16_e32 v75, 0xbbc4, v59
	;; [unrolled: 1-line block ×6, first 2 shown]
	v_fma_f16 v64, v7, 0xb5ac, -v69
	v_fmamk_f16 v66, v9, 0xbb7b, v77
	v_fma_f16 v70, v7, 0xbbc4, -v81
	v_fmamk_f16 v101, v9, 0xb3a8, v89
	;; [unrolled: 2-line block ×3, first 2 shown]
	v_add_f16_e32 v12, v4, v12
	v_add_f16_sdwa v13, v4, v13 dst_sel:DWORD dst_unused:UNUSED_PAD src0_sel:WORD_1 src1_sel:DWORD
	v_add_f16_e32 v14, v4, v14
	v_add_f16_sdwa v15, v4, v15 dst_sel:DWORD dst_unused:UNUSED_PAD src0_sel:WORD_1 src1_sel:DWORD
	;; [unrolled: 2-line block ×3, first 2 shown]
	v_add_f16_e32 v28, v30, v23
	v_sub_f16_e32 v32, v30, v23
	v_sub_f16_e32 v56, v43, v40
	v_add_f16_e32 v60, v43, v40
	v_mul_f16_e32 v65, 0x394e, v54
	v_mul_f16_e32 v72, 0xb9fd, v58
	;; [unrolled: 1-line block ×6, first 2 shown]
	v_fma_f16 v104, v10, 0xbbc4, -v68
	v_fmamk_f16 v105, v11, 0xb3a8, v75
	v_fma_f16 v106, v10, 0xb5ac, -v80
	v_fmamk_f16 v107, v11, 0x3b7b, v87
	;; [unrolled: 2-line block ×3, first 2 shown]
	v_add_f16_e32 v12, v64, v12
	v_add_f16_e32 v13, v66, v13
	;; [unrolled: 1-line block ×7, first 2 shown]
	v_sub_f16_e32 v37, v29, v24
	v_sub_f16_e32 v57, v42, v41
	v_add_f16_e32 v61, v42, v41
	v_mul_f16_e32 v63, 0x3bf1, v56
	v_mul_f16_e32 v71, 0x2fb7, v60
	;; [unrolled: 1-line block ×6, first 2 shown]
	v_fma_f16 v110, v28, 0xb9fd, -v65
	v_fmamk_f16 v111, v32, 0x394e, v72
	v_fma_f16 v112, v28, 0x3b15, -v79
	v_fmamk_f16 v113, v32, 0x3770, v86
	;; [unrolled: 2-line block ×3, first 2 shown]
	v_add_f16_e32 v12, v104, v12
	v_add_f16_e32 v13, v105, v13
	;; [unrolled: 1-line block ×7, first 2 shown]
	v_sub_f16_e32 v48, v27, v26
	v_mul_f16_e32 v62, 0x3770, v57
	v_mul_f16_e32 v67, 0x3b15, v61
	;; [unrolled: 1-line block ×6, first 2 shown]
	v_fma_f16 v116, v35, 0x2fb7, -v63
	v_fmamk_f16 v117, v37, 0x3bf1, v71
	v_fma_f16 v118, v35, 0x388b, -v78
	v_fmamk_f16 v119, v37, 0xba95, v84
	;; [unrolled: 2-line block ×3, first 2 shown]
	v_add_f16_e32 v12, v110, v12
	v_add_f16_e32 v13, v111, v13
	;; [unrolled: 1-line block ×6, first 2 shown]
	v_fma_f16 v122, v45, 0x3b15, -v62
	v_fmamk_f16 v123, v48, 0x3770, v67
	v_fma_f16 v124, v45, 0xb9fd, -v74
	v_fmamk_f16 v64, v48, 0xb94e, v83
	;; [unrolled: 2-line block ×3, first 2 shown]
	v_add_f16_e32 v12, v116, v12
	v_add_f16_e32 v13, v117, v13
	;; [unrolled: 1-line block ×12, first 2 shown]
	s_and_saveexec_b32 s4, s1
	s_cbranch_execz .LBB0_19
; %bb.18:
	v_mul_f16_e32 v101, 0xbbc4, v53
	v_mul_f16_e32 v102, 0xb3a8, v50
	;; [unrolled: 1-line block ×5, first 2 shown]
	v_fmamk_f16 v64, v8, 0x33a8, v101
	v_fmamk_f16 v107, v5, 0xbbc4, v102
	;; [unrolled: 1-line block ×4, first 2 shown]
	v_mul_f16_e32 v104, 0xb9fd, v59
	v_add_f16_sdwa v64, v4, v64 dst_sel:DWORD dst_unused:UNUSED_PAD src0_sel:WORD_1 src1_sel:DWORD
	v_add_f16_e32 v107, v4, v107
	v_mul_f16_e32 v108, 0x3a95, v54
	v_mul_f16_e32 v106, 0x388b, v58
	v_fmamk_f16 v110, v11, 0x394e, v104
	v_add_f16_e32 v64, v66, v64
	v_fmamk_f16 v66, v10, 0xb9fd, v105
	v_add_f16_e32 v107, v109, v107
	v_mul_f16_e32 v111, 0xb9fd, v53
	v_fmamk_f16 v112, v32, 0xba95, v106
	v_add_f16_e32 v64, v110, v64
	v_mul_f16_e32 v109, 0xb5ac, v60
	v_add_f16_e32 v66, v66, v107
	v_fmamk_f16 v107, v28, 0x388b, v108
	v_mul_f16_e32 v110, 0x2fb7, v55
	v_fmamk_f16 v113, v8, 0x394e, v111
	v_add_f16_e32 v64, v112, v64
	v_fmamk_f16 v112, v37, 0x3b7b, v109
	v_add_f16_e32 v66, v107, v66
	v_mul_f16_e32 v107, 0xbb7b, v56
	v_add_f16_sdwa v113, v4, v113 dst_sel:DWORD dst_unused:UNUSED_PAD src0_sel:WORD_1 src1_sel:DWORD
	v_fmamk_f16 v114, v9, 0xbbf1, v110
	v_mul_f16_e32 v115, 0x388b, v59
	v_mul_f16_e32 v118, 0x3bf1, v57
	v_fmamk_f16 v116, v35, 0xb5ac, v107
	v_add_f16_e32 v64, v112, v64
	v_add_f16_e32 v112, v114, v113
	v_fmamk_f16 v113, v11, 0x3a95, v115
	v_mul_f16_e32 v114, 0xbbc4, v58
	v_mul_f16_e32 v117, 0x2fb7, v61
	v_add_f16_e32 v66, v116, v66
	v_fmamk_f16 v120, v45, 0x2fb7, v118
	v_add_f16_e32 v112, v113, v112
	v_fmamk_f16 v113, v32, 0xb3a8, v114
	v_mul_f16_e32 v119, 0x3b15, v60
	v_fmamk_f16 v116, v48, 0xbbf1, v117
	v_add_f16_e32 v66, v120, v66
	v_mul_f16_e32 v120, 0xbb7b, v8
	v_add_f16_e32 v112, v113, v112
	v_fmamk_f16 v113, v37, 0xb770, v119
	v_add_f16_e32 v64, v116, v64
	v_mul_f16_e32 v116, 0xb94e, v50
	v_mul_f16_e32 v123, 0x394e, v9
	v_sub_f16_e32 v99, v99, v120
	v_add_f16_e32 v112, v113, v112
	v_mul_f16_e32 v113, 0xb5ac, v61
	v_fmamk_f16 v121, v5, 0xb9fd, v116
	v_mul_f16_e32 v122, 0x3bf1, v51
	v_sub_f16_e32 v100, v100, v123
	v_add_f16_sdwa v99, v4, v99 dst_sel:DWORD dst_unused:UNUSED_PAD src0_sel:WORD_1 src1_sel:DWORD
	v_fmamk_f16 v124, v48, 0x3b7b, v113
	v_add_f16_e32 v120, v4, v121
	v_fmamk_f16 v121, v7, 0x2fb7, v122
	v_mul_f16_e32 v123, 0xba95, v52
	v_mul_f16_e32 v125, 0x3770, v11
	v_add_f16_e32 v99, v100, v99
	v_mul_f16_e32 v100, 0xb5ac, v5
	v_add_f16_e32 v112, v124, v112
	v_add_f16_e32 v120, v121, v120
	v_fmamk_f16 v121, v10, 0x388b, v123
	v_sub_f16_e32 v98, v98, v125
	v_mul_f16_e32 v124, 0x33a8, v54
	v_mul_f16_e32 v125, 0xb9fd, v7
	v_add_f16_e32 v95, v100, v95
	v_add_f16_e32 v120, v121, v120
	;; [unrolled: 1-line block ×3, first 2 shown]
	v_fmamk_f16 v100, v28, 0xbbc4, v124
	v_add_f16_e32 v96, v125, v96
	v_add_f16_e32 v95, v4, v95
	;; [unrolled: 1-line block ×3, first 2 shown]
	v_add_f16_sdwa v49, v4, v49 dst_sel:DWORD dst_unused:UNUSED_PAD src0_sel:WORD_1 src1_sel:DWORD
	v_add_f16_e32 v99, v100, v120
	v_mul_f16_e32 v100, 0x3b15, v10
	v_add_f16_e32 v95, v96, v95
	v_mul_f16_e32 v96, 0xbbf1, v8
	v_add_f16_e32 v33, v39, v33
	v_add_f16_e32 v47, v49, v47
	;; [unrolled: 1-line block ×3, first 2 shown]
	v_mul_f16_e32 v100, 0xb3a8, v9
	v_sub_f16_e32 v88, v88, v96
	v_mul_f16_e32 v96, 0x2fb7, v28
	v_add_f16_e32 v31, v33, v31
	v_mul_f16_e32 v121, 0xbbf1, v32
	v_sub_f16_e32 v89, v89, v100
	v_add_f16_sdwa v88, v4, v88 dst_sel:DWORD dst_unused:UNUSED_PAD src0_sel:WORD_1 src1_sel:DWORD
	v_add_f16_e32 v93, v93, v95
	v_add_f16_e32 v91, v96, v91
	v_mul_f16_e32 v96, 0x3b7b, v11
	v_mul_f16_e32 v33, 0xb770, v50
	v_add_f16_e32 v88, v89, v88
	v_mul_f16_e32 v89, 0xbbc4, v35
	v_add_f16_e32 v46, v47, v46
	v_add_f16_e32 v30, v31, v30
	v_sub_f16_e32 v97, v97, v121
	v_mul_f16_e32 v120, 0x33a8, v37
	v_sub_f16_e32 v87, v87, v96
	v_mul_f16_e32 v96, 0x3770, v32
	v_add_f16_e32 v91, v91, v93
	v_add_f16_e32 v89, v89, v90
	v_fmamk_f16 v31, v5, 0x3b15, v33
	v_mul_f16_e32 v47, 0xba95, v51
	v_add_f16_e32 v44, v46, v44
	v_add_f16_e32 v29, v30, v29
	;; [unrolled: 1-line block ×3, first 2 shown]
	v_sub_f16_e32 v94, v94, v120
	v_add_f16_e32 v87, v87, v88
	v_sub_f16_e32 v86, v86, v96
	v_mul_f16_e32 v90, 0xba95, v37
	v_add_f16_e32 v89, v89, v91
	v_mul_f16_e32 v91, 0x2fb7, v5
	v_add_f16_e32 v30, v4, v31
	v_fmamk_f16 v31, v7, 0x388b, v47
	v_mul_f16_e32 v46, 0xbbf1, v52
	v_add_f16_e32 v43, v44, v43
	v_add_f16_e32 v27, v29, v27
	;; [unrolled: 1-line block ×3, first 2 shown]
	v_mul_f16_e32 v97, 0x3a95, v48
	v_add_f16_e32 v86, v86, v87
	v_sub_f16_e32 v84, v84, v90
	v_mul_f16_e32 v87, 0xbbc4, v7
	v_add_f16_e32 v82, v91, v82
	v_add_f16_e32 v30, v31, v30
	v_fmamk_f16 v31, v10, 0x2fb7, v46
	v_add_f16_e32 v42, v43, v42
	v_add_f16_e32 v26, v27, v26
	v_sub_f16_e32 v88, v92, v97
	v_mul_f16_e32 v91, 0xb94e, v48
	v_add_f16_e32 v81, v87, v81
	v_add_f16_e32 v82, v4, v82
	v_mul_f16_e32 v87, 0xb5ac, v10
	v_add_f16_e32 v84, v84, v86
	v_mul_f16_e32 v86, 0xba95, v8
	v_mul_f16_e32 v27, 0xbb7b, v54
	v_add_f16_e32 v30, v31, v30
	v_add_f16_e32 v31, v42, v41
	;; [unrolled: 1-line block ×3, first 2 shown]
	v_sub_f16_e32 v83, v83, v91
	v_add_f16_e32 v81, v81, v82
	v_add_f16_e32 v80, v87, v80
	;; [unrolled: 1-line block ×3, first 2 shown]
	v_mul_f16_e32 v88, 0x3b15, v28
	v_mul_f16_e32 v91, 0xbb7b, v9
	v_sub_f16_e32 v76, v76, v86
	v_fmamk_f16 v26, v28, 0xb5ac, v27
	v_mul_f16_e32 v41, 0xb94e, v56
	v_add_f16_e32 v31, v31, v40
	v_add_f16_e32 v23, v24, v23
	;; [unrolled: 1-line block ×4, first 2 shown]
	v_sub_f16_e32 v77, v77, v91
	v_add_f16_sdwa v76, v4, v76 dst_sel:DWORD dst_unused:UNUSED_PAD src0_sel:WORD_1 src1_sel:DWORD
	v_mul_f16_e32 v86, 0xb3a8, v11
	v_add_f16_e32 v24, v26, v30
	v_fmamk_f16 v26, v35, 0xb9fd, v41
	v_mul_f16_e32 v30, 0xb3a8, v57
	v_add_f16_e32 v31, v31, v38
	v_add_f16_e32 v22, v23, v22
	;; [unrolled: 1-line block ×3, first 2 shown]
	v_mul_f16_e32 v80, 0x388b, v5
	v_add_f16_e32 v76, v77, v76
	v_sub_f16_e32 v75, v75, v86
	v_add_f16_e32 v23, v26, v24
	v_fmamk_f16 v24, v45, 0xbbc4, v30
	v_add_f16_e32 v26, v31, v36
	v_add_f16_e32 v20, v22, v20
	;; [unrolled: 1-line block ×3, first 2 shown]
	v_mul_f16_e32 v80, 0xb5ac, v7
	v_add_f16_e32 v75, v75, v76
	v_mul_f16_e32 v76, 0x394e, v32
	v_add_f16_e32 v23, v24, v23
	v_add_f16_e32 v24, v26, v34
	;; [unrolled: 1-line block ×3, first 2 shown]
	v_fma_f16 v21, v5, 0xbbc4, -v102
	v_add_f16_e32 v69, v80, v69
	v_add_f16_e32 v73, v4, v73
	v_mul_f16_e32 v80, 0xbbc4, v10
	v_sub_f16_e32 v72, v72, v76
	v_mul_f16_e32 v76, 0x3bf1, v37
	v_add_f16_e32 v24, v24, v25
	v_add_f16_e32 v21, v4, v21
	v_fma_f16 v25, v7, 0x3b15, -v103
	v_add_f16_e32 v69, v69, v73
	v_add_f16_e32 v68, v80, v68
	;; [unrolled: 1-line block ×3, first 2 shown]
	v_mul_f16_e32 v73, 0xb9fd, v28
	v_sub_f16_e32 v71, v71, v76
	v_mul_f16_e32 v53, 0x3b15, v53
	v_add_f16_e32 v21, v25, v21
	v_fma_f16 v25, v10, 0xb9fd, -v105
	v_mul_f16_e32 v75, 0x2fb7, v35
	v_add_f16_e32 v68, v68, v69
	v_mul_f16_e32 v69, 0x3770, v48
	v_add_f16_e32 v65, v73, v65
	v_add_f16_e32 v71, v71, v72
	v_fmamk_f16 v72, v8, 0x3770, v53
	v_mul_f16_e32 v55, 0x388b, v55
	v_add_f16_e32 v21, v25, v21
	v_fma_f16 v25, v28, 0x388b, -v108
	v_fma_f16 v31, v5, 0xb9fd, -v116
	v_mul_f16_e32 v76, 0x3b15, v45
	v_sub_f16_e32 v67, v67, v69
	v_add_f16_e32 v65, v65, v68
	v_add_f16_e32 v63, v75, v63
	v_add_f16_sdwa v68, v4, v72 dst_sel:DWORD dst_unused:UNUSED_PAD src0_sel:WORD_1 src1_sel:DWORD
	v_fmamk_f16 v69, v9, 0x3a95, v55
	v_mul_f16_e32 v59, 0x2fb7, v59
	v_fmac_f16_e32 v101, 0xb3a8, v8
	v_fmac_f16_e32 v111, 0xb94e, v8
	v_add_f16_e32 v21, v25, v21
	v_fma_f16 v25, v35, 0xb5ac, -v107
	v_add_f16_e32 v31, v4, v31
	v_fma_f16 v34, v7, 0x2fb7, -v122
	v_fmac_f16_e32 v53, 0xb770, v8
	v_fma_f16 v5, v5, 0x3b15, -v33
	v_add_f16_e32 v63, v63, v65
	v_add_f16_e32 v62, v76, v62
	;; [unrolled: 1-line block ×3, first 2 shown]
	v_fmamk_f16 v68, v11, 0x3bf1, v59
	v_mul_f16_e32 v58, 0xb5ac, v58
	v_add_f16_sdwa v22, v4, v101 dst_sel:DWORD dst_unused:UNUSED_PAD src0_sel:WORD_1 src1_sel:DWORD
	v_fmac_f16_e32 v70, 0x3770, v9
	v_mul_f16_e32 v81, 0x388b, v35
	v_add_f16_sdwa v26, v4, v111 dst_sel:DWORD dst_unused:UNUSED_PAD src0_sel:WORD_1 src1_sel:DWORD
	v_fmac_f16_e32 v110, 0x3bf1, v9
	v_add_f16_e32 v21, v25, v21
	v_fma_f16 v25, v45, 0x2fb7, -v118
	v_add_f16_e32 v8, v34, v31
	v_add_f16_sdwa v31, v4, v53 dst_sel:DWORD dst_unused:UNUSED_PAD src0_sel:WORD_1 src1_sel:DWORD
	v_fmac_f16_e32 v55, 0xba95, v9
	v_add_f16_e32 v4, v4, v5
	v_fma_f16 v5, v7, 0x388b, -v47
	v_add_f16_e32 v62, v62, v63
	v_add_f16_e32 v39, v68, v65
	v_fmamk_f16 v63, v32, 0x3b7b, v58
	v_mul_f16_e32 v60, 0xb9fd, v60
	v_add_f16_e32 v22, v70, v22
	v_fmac_f16_e32 v104, 0xb94e, v11
	v_add_f16_e32 v78, v81, v78
	v_add_f16_e32 v26, v110, v26
	v_fmac_f16_e32 v115, 0xba95, v11
	v_add_f16_e32 v21, v25, v21
	v_fma_f16 v25, v10, 0x388b, -v123
	v_add_f16_e32 v7, v55, v31
	v_fmac_f16_e32 v59, 0xbbf1, v11
	v_add_f16_e32 v4, v5, v4
	v_fma_f16 v5, v10, 0x2fb7, -v46
	v_mul_f16_e32 v98, 0x3770, v56
	v_add_f16_e32 v39, v63, v39
	v_fmamk_f16 v49, v37, 0x394e, v60
	v_mul_f16_e32 v29, 0xbbc4, v61
	v_add_f16_e32 v22, v104, v22
	v_fmac_f16_e32 v106, 0x3a95, v32
	v_add_f16_e32 v78, v78, v79
	v_mul_f16_e32 v79, 0xb9fd, v45
	v_add_f16_e32 v26, v115, v26
	v_fmac_f16_e32 v114, 0x33a8, v32
	v_add_f16_e32 v8, v25, v8
	v_fma_f16 v9, v28, 0xbbc4, -v124
	v_add_f16_e32 v7, v59, v7
	v_fmac_f16_e32 v58, 0xbb7b, v32
	v_add_f16_e32 v4, v5, v4
	v_fma_f16 v5, v28, 0xb5ac, -v27
	v_fmamk_f16 v95, v35, 0x3b15, v98
	v_mul_f16_e32 v92, 0x388b, v45
	v_mul_f16_e32 v90, 0xbb7b, v57
	v_add_f16_e32 v39, v49, v39
	v_fmamk_f16 v43, v48, 0x33a8, v29
	v_add_f16_e32 v22, v106, v22
	v_fmac_f16_e32 v109, 0xbb7b, v37
	v_mov_b32_e32 v10, 0x9c
	v_mov_b32_e32 v11, 2
	v_add_f16_e32 v74, v79, v74
	v_add_f16_e32 v26, v114, v26
	v_fmac_f16_e32 v119, 0x3770, v37
	v_add_f16_e32 v8, v9, v8
	v_fma_f16 v9, v35, 0x3b15, -v98
	v_add_f16_e32 v7, v58, v7
	v_fmac_f16_e32 v60, 0xb94e, v37
	v_add_f16_e32 v4, v5, v4
	v_fma_f16 v5, v35, 0xb9fd, -v41
	v_add_f16_e32 v95, v95, v99
	v_add_f16_e32 v85, v92, v85
	v_fmamk_f16 v92, v45, 0xb5ac, v90
	v_add_f16_e32 v39, v43, v39
	v_add_f16_e32 v22, v109, v22
	v_fmac_f16_e32 v117, 0x3bf1, v48
	v_mul_u32_u24_sdwa v6, v6, v10 dst_sel:DWORD dst_unused:UNUSED_PAD src0_sel:WORD_0 src1_sel:DWORD
	v_lshlrev_b32_sdwa v10, v11, v19 dst_sel:DWORD dst_unused:UNUSED_PAD src0_sel:DWORD src1_sel:BYTE_0
	v_add_f16_e32 v77, v83, v84
	v_add_f16_e32 v74, v74, v78
	;; [unrolled: 1-line block ×4, first 2 shown]
	v_fmac_f16_e32 v113, 0xbb7b, v48
	v_add_f16_e32 v8, v9, v8
	v_fma_f16 v9, v45, 0xb5ac, -v90
	v_add_f16_e32 v7, v60, v7
	v_fmac_f16_e32 v29, 0xb3a8, v48
	v_add_f16_e32 v4, v5, v4
	v_fma_f16 v5, v45, 0xbbc4, -v30
	v_add_f16_e32 v82, v92, v95
	v_add_f16_e32 v85, v85, v89
	;; [unrolled: 1-line block ×3, first 2 shown]
	v_add3_u32 v6, 0, v6, v10
	v_pack_b32_f16 v10, v20, v24
	v_pack_b32_f16 v11, v23, v39
	v_add_f16_e32 v26, v113, v26
	v_pack_b32_f16 v19, v62, v67
	v_pack_b32_f16 v20, v74, v77
	v_add_f16_e32 v8, v9, v8
	v_add_f16_e32 v7, v29, v7
	v_add_f16_e32 v4, v5, v4
	v_pack_b32_f16 v5, v85, v87
	v_pack_b32_f16 v9, v82, v112
	ds_write2_b32 v6, v10, v11 offset1:3
	ds_write2_b32 v6, v19, v20 offset0:6 offset1:9
	v_pack_b32_f16 v10, v66, v64
	v_pack_b32_f16 v11, v21, v22
	;; [unrolled: 1-line block ×3, first 2 shown]
	v_perm_b32 v19, v13, v12, 0x5040100
	v_perm_b32 v20, v18, v15, 0x5040100
	;; [unrolled: 1-line block ×3, first 2 shown]
	v_pack_b32_f16 v4, v4, v7
	ds_write2_b32 v6, v5, v9 offset0:12 offset1:15
	ds_write2_b32 v6, v10, v11 offset0:18 offset1:21
	;; [unrolled: 1-line block ×4, first 2 shown]
	ds_write_b32 v6, v4 offset:144
.LBB0_19:
	s_or_b32 exec_lo, exec_lo, s4
	v_lshl_add_u32 v19, v3, 2, 0
	s_waitcnt lgkmcnt(0)
	s_barrier
	buffer_gl0_inv
	v_add_nc_u32_e32 v4, 0x300, v19
	v_add_nc_u32_e32 v8, 0xc00, v19
	v_add_nc_u32_e32 v9, 0x800, v19
	ds_read2_b32 v[6:7], v19 offset1:117
	ds_read2_b32 v[4:5], v4 offset0:42 offset1:237
	ds_read2_b32 v[10:11], v8 offset0:90 offset1:207
	;; [unrolled: 1-line block ×3, first 2 shown]
	ds_read_b32 v20, v19 offset:4368
	s_and_saveexec_b32 s1, s0
	s_cbranch_execz .LBB0_21
; %bb.20:
	ds_read_b32 v12, v19 offset:1404
	ds_read_b32 v14, v19 offset:4836
	;; [unrolled: 1-line block ×3, first 2 shown]
	s_waitcnt lgkmcnt(2)
	v_lshrrev_b32_e32 v13, 16, v12
	s_waitcnt lgkmcnt(1)
	v_lshrrev_b32_e32 v17, 16, v14
	;; [unrolled: 2-line block ×3, first 2 shown]
.LBB0_21:
	s_or_b32 exec_lo, exec_lo, s1
	v_add_nc_u16 v22, v3, 0x75
	v_mul_lo_u16 v16, 0xa5, v16
	v_add_nc_u32_e32 v25, 0xea, v3
	v_mov_b32_e32 v39, 0x1d4
	s_waitcnt lgkmcnt(3)
	v_lshrrev_b32_e32 v38, 16, v5
	v_and_b32_e32 v21, 0xff, v22
	v_lshrrev_b16 v23, 8, v16
	s_waitcnt lgkmcnt(2)
	v_lshrrev_b32_e32 v40, 16, v10
	v_lshrrev_b32_e32 v35, 16, v6
	s_waitcnt lgkmcnt(1)
	v_lshrrev_b32_e32 v41, 16, v8
	v_mul_lo_u16 v16, 0xa5, v21
	v_sub_nc_u16 v21, v3, v23
	v_lshrrev_b32_e32 v42, 16, v11
	v_lshrrev_b32_e32 v43, 16, v9
	s_waitcnt lgkmcnt(0)
	v_lshrrev_b32_e32 v44, 16, v20
	v_lshrrev_b16 v24, 8, v16
	v_lshrrev_b16 v21, 1, v21
	v_mov_b32_e32 v16, 0xa41b
	v_lshrrev_b32_e32 v36, 16, v7
	v_lshrrev_b32_e32 v37, 16, v4
	v_sub_nc_u16 v26, v22, v24
	v_and_b32_e32 v21, 0x7f, v21
	v_mul_u32_u24_sdwa v27, v25, v16 dst_sel:DWORD dst_unused:UNUSED_PAD src0_sel:WORD_0 src1_sel:DWORD
	v_lshrrev_b16 v26, 1, v26
	v_add_nc_u16 v21, v21, v23
	v_lshrrev_b32_e32 v23, 16, v27
	v_and_b32_e32 v26, 0x7f, v26
	v_lshrrev_b16 v21, 5, v21
	v_sub_nc_u16 v27, v25, v23
	v_add_nc_u16 v24, v26, v24
	v_and_b32_e32 v29, 7, v21
	v_lshrrev_b16 v26, 1, v27
	v_mov_b32_e32 v21, 3
	v_lshrrev_b16 v24, 5, v24
	v_mul_lo_u16 v27, v29, 39
	v_add_nc_u16 v23, v26, v23
	v_mul_u32_u24_sdwa v29, v29, v39 dst_sel:DWORD dst_unused:UNUSED_PAD src0_sel:WORD_0 src1_sel:DWORD
	v_and_b32_e32 v30, 7, v24
	v_sub_nc_u16 v31, v3, v27
	v_lshrrev_b16 v32, 5, v23
	v_mul_lo_u16 v23, v30, 39
	v_lshlrev_b32_sdwa v24, v21, v31 dst_sel:DWORD dst_unused:UNUSED_PAD src0_sel:DWORD src1_sel:BYTE_0
	v_mul_lo_u16 v26, v32, 39
	v_mul_u32_u24_sdwa v32, v32, v39 dst_sel:DWORD dst_unused:UNUSED_PAD src0_sel:WORD_0 src1_sel:DWORD
	v_mul_u32_u24_sdwa v30, v30, v39 dst_sel:DWORD dst_unused:UNUSED_PAD src0_sel:WORD_0 src1_sel:DWORD
	v_sub_nc_u16 v33, v22, v23
	global_load_dwordx2 v[23:24], v24, s[8:9] offset:144
	v_sub_nc_u16 v34, v25, v26
	v_lshlrev_b32_sdwa v22, v21, v33 dst_sel:DWORD dst_unused:UNUSED_PAD src0_sel:DWORD src1_sel:BYTE_0
	v_lshlrev_b32_sdwa v27, v21, v34 dst_sel:DWORD dst_unused:UNUSED_PAD src0_sel:DWORD src1_sel:WORD_0
	s_clause 0x1
	global_load_dwordx2 v[25:26], v22, s[8:9] offset:144
	global_load_dwordx2 v[27:28], v27, s[8:9] offset:144
	v_mov_b32_e32 v22, 2
	s_waitcnt vmcnt(0)
	s_barrier
	buffer_gl0_inv
	v_lshlrev_b32_sdwa v34, v22, v34 dst_sel:DWORD dst_unused:UNUSED_PAD src0_sel:DWORD src1_sel:WORD_0
	v_lshlrev_b32_sdwa v31, v22, v31 dst_sel:DWORD dst_unused:UNUSED_PAD src0_sel:DWORD src1_sel:BYTE_0
	v_add3_u32 v32, 0, v32, v34
	v_add3_u32 v29, 0, v29, v31
	v_lshlrev_b32_sdwa v31, v22, v33 dst_sel:DWORD dst_unused:UNUSED_PAD src0_sel:DWORD src1_sel:BYTE_0
	v_add3_u32 v30, 0, v30, v31
	v_mul_f16_sdwa v33, v23, v38 dst_sel:DWORD dst_unused:UNUSED_PAD src0_sel:WORD_1 src1_sel:DWORD
	v_mul_f16_sdwa v34, v23, v5 dst_sel:DWORD dst_unused:UNUSED_PAD src0_sel:WORD_1 src1_sel:DWORD
	;; [unrolled: 1-line block ×4, first 2 shown]
	v_fmac_f16_e32 v33, v23, v5
	v_fma_f16 v5, v23, v38, -v34
	v_fmac_f16_e32 v39, v24, v10
	v_fma_f16 v10, v24, v40, -v45
	v_mul_f16_sdwa v23, v25, v41 dst_sel:DWORD dst_unused:UNUSED_PAD src0_sel:WORD_1 src1_sel:DWORD
	v_mul_f16_sdwa v24, v25, v8 dst_sel:DWORD dst_unused:UNUSED_PAD src0_sel:WORD_1 src1_sel:DWORD
	;; [unrolled: 1-line block ×4, first 2 shown]
	v_sub_f16_e32 v49, v5, v10
	v_add_f16_e32 v50, v35, v5
	v_add_f16_e32 v5, v5, v10
	v_mul_f16_sdwa v38, v27, v43 dst_sel:DWORD dst_unused:UNUSED_PAD src0_sel:WORD_1 src1_sel:DWORD
	v_mul_f16_sdwa v40, v27, v9 dst_sel:DWORD dst_unused:UNUSED_PAD src0_sel:WORD_1 src1_sel:DWORD
	;; [unrolled: 1-line block ×4, first 2 shown]
	v_add_f16_e32 v47, v6, v33
	v_add_f16_e32 v48, v33, v39
	v_sub_f16_e32 v33, v33, v39
	v_fmac_f16_e32 v23, v25, v8
	v_fma_f16 v8, v25, v41, -v24
	v_fmac_f16_e32 v31, v26, v11
	v_fma_f16 v11, v26, v42, -v34
	v_fmac_f16_e32 v35, -0.5, v5
	v_fmac_f16_e32 v38, v27, v9
	v_fma_f16 v9, v27, v43, -v40
	v_fmac_f16_e32 v45, v28, v20
	v_fma_f16 v20, v28, v44, -v46
	v_fma_f16 v6, -0.5, v48, v6
	v_fmamk_f16 v25, v33, 0x3aee, v35
	v_fmac_f16_e32 v35, 0xbaee, v33
	v_add_f16_e32 v27, v23, v31
	v_sub_f16_e32 v28, v8, v11
	v_add_f16_e32 v33, v36, v8
	v_add_f16_e32 v8, v8, v11
	;; [unrolled: 1-line block ×4, first 2 shown]
	v_sub_f16_e32 v40, v9, v20
	v_add_f16_e32 v41, v37, v9
	v_add_f16_e32 v9, v9, v20
	;; [unrolled: 1-line block ×3, first 2 shown]
	v_fmamk_f16 v24, v49, 0xbaee, v6
	v_add_f16_e32 v26, v7, v23
	v_sub_f16_e32 v23, v23, v31
	v_fmac_f16_e32 v7, -0.5, v27
	v_fmac_f16_e32 v36, -0.5, v8
	v_add_f16_e32 v34, v4, v38
	v_sub_f16_e32 v38, v38, v45
	v_fmac_f16_e32 v4, -0.5, v39
	v_fmac_f16_e32 v37, -0.5, v9
	v_fmac_f16_e32 v6, 0x3aee, v49
	v_pack_b32_f16 v5, v5, v10
	v_add_f16_e32 v10, v26, v31
	v_add_f16_e32 v11, v33, v11
	v_pack_b32_f16 v9, v24, v25
	v_fmamk_f16 v24, v28, 0xbaee, v7
	v_fmamk_f16 v25, v23, 0x3aee, v36
	v_fmac_f16_e32 v7, 0x3aee, v28
	v_fmac_f16_e32 v36, 0xbaee, v23
	v_add_f16_e32 v8, v34, v45
	v_add_f16_e32 v20, v41, v20
	v_fmamk_f16 v23, v40, 0xbaee, v4
	v_fmamk_f16 v26, v38, 0x3aee, v37
	v_fmac_f16_e32 v4, 0x3aee, v40
	v_fmac_f16_e32 v37, 0xbaee, v38
	v_pack_b32_f16 v6, v6, v35
	ds_write2_b32 v29, v5, v9 offset1:39
	v_pack_b32_f16 v5, v10, v11
	v_pack_b32_f16 v9, v24, v25
	;; [unrolled: 1-line block ×6, first 2 shown]
	ds_write_b32 v29, v6 offset:312
	ds_write2_b32 v30, v5, v9 offset1:39
	ds_write_b32 v30, v7 offset:312
	ds_write2_b32 v32, v8, v10 offset1:39
	ds_write_b32 v32, v4 offset:312
	s_and_saveexec_b32 s1, s0
	s_cbranch_execz .LBB0_23
; %bb.22:
	v_add_nc_u32_e32 v4, 0x15f, v3
	v_mul_u32_u24_sdwa v5, v4, v16 dst_sel:DWORD dst_unused:UNUSED_PAD src0_sel:WORD_0 src1_sel:DWORD
	v_lshrrev_b32_e32 v5, 16, v5
	v_sub_nc_u16 v6, v4, v5
	v_lshrrev_b16 v6, 1, v6
	v_add_nc_u16 v5, v6, v5
	v_lshrrev_b16 v6, 5, v5
	v_mul_lo_u16 v5, v6, 39
	v_mul_lo_u16 v6, 0x75, v6
	v_sub_nc_u16 v7, v4, v5
	v_lshlrev_b32_sdwa v4, v21, v7 dst_sel:DWORD dst_unused:UNUSED_PAD src0_sel:DWORD src1_sel:WORD_0
	global_load_dwordx2 v[4:5], v4, s[8:9] offset:144
	s_waitcnt vmcnt(0)
	v_mul_f16_sdwa v8, v15, v4 dst_sel:DWORD dst_unused:UNUSED_PAD src0_sel:DWORD src1_sel:WORD_1
	v_mul_f16_sdwa v9, v14, v5 dst_sel:DWORD dst_unused:UNUSED_PAD src0_sel:DWORD src1_sel:WORD_1
	v_mul_f16_sdwa v10, v18, v4 dst_sel:DWORD dst_unused:UNUSED_PAD src0_sel:DWORD src1_sel:WORD_1
	v_mul_f16_sdwa v11, v17, v5 dst_sel:DWORD dst_unused:UNUSED_PAD src0_sel:DWORD src1_sel:WORD_1
	v_fma_f16 v8, v18, v4, -v8
	v_fma_f16 v9, v17, v5, -v9
	v_fmac_f16_e32 v10, v15, v4
	v_fmac_f16_e32 v11, v14, v5
	v_lshlrev_b32_sdwa v4, v22, v6 dst_sel:DWORD dst_unused:UNUSED_PAD src0_sel:DWORD src1_sel:WORD_0
	v_lshlrev_b32_sdwa v5, v22, v7 dst_sel:DWORD dst_unused:UNUSED_PAD src0_sel:DWORD src1_sel:WORD_0
	v_add_f16_e32 v6, v8, v9
	v_add_f16_e32 v15, v13, v8
	;; [unrolled: 1-line block ×3, first 2 shown]
	v_sub_f16_e32 v7, v10, v11
	v_add_f16_e32 v10, v12, v10
	v_fma_f16 v6, -0.5, v6, v13
	v_sub_f16_e32 v8, v8, v9
	v_fma_f16 v12, -0.5, v14, v12
	v_add_f16_e32 v9, v15, v9
	v_add_f16_e32 v10, v10, v11
	v_fmamk_f16 v11, v7, 0xbaee, v6
	v_fmac_f16_e32 v6, 0x3aee, v7
	v_fmamk_f16 v7, v8, 0x3aee, v12
	v_fmac_f16_e32 v12, 0xbaee, v8
	v_add3_u32 v4, 0, v5, v4
	v_pack_b32_f16 v5, v10, v9
	v_pack_b32_f16 v7, v7, v11
	v_pack_b32_f16 v6, v12, v6
	ds_write2_b32 v4, v5, v6 offset1:39
	ds_write_b32 v4, v7 offset:312
.LBB0_23:
	s_or_b32 exec_lo, exec_lo, s1
	s_waitcnt lgkmcnt(0)
	s_barrier
	buffer_gl0_inv
	s_and_saveexec_b32 s0, vcc_lo
	s_cbranch_execz .LBB0_25
; %bb.24:
	v_mul_u32_u24_e32 v3, 10, v3
	v_add_nc_u32_e32 v16, 0x200, v19
	v_add_nc_u32_e32 v18, 0xe00, v19
	;; [unrolled: 1-line block ×4, first 2 shown]
	v_lshlrev_b32_e32 v3, 2, v3
	v_add_co_u32 v0, vcc_lo, s2, v0
	v_add_co_ci_u32_e32 v1, vcc_lo, s3, v1, vcc_lo
	s_clause 0x2
	global_load_dwordx4 v[6:9], v3, s[8:9] offset:456
	global_load_dwordx2 v[14:15], v3, s[8:9] offset:488
	global_load_dwordx4 v[10:13], v3, s[8:9] offset:472
	ds_read2_b32 v[4:5], v19 offset1:117
	ds_read_b32 v24, v19 offset:4680
	ds_read2_b32 v[16:17], v16 offset0:106 offset1:223
	ds_read2_b32 v[18:19], v18 offset0:40 offset1:157
	;; [unrolled: 1-line block ×4, first 2 shown]
	v_mov_b32_e32 v3, 0
	v_lshlrev_b64 v[2:3], 2, v[2:3]
	v_add_co_u32 v0, vcc_lo, v0, v2
	v_add_co_ci_u32_e32 v1, vcc_lo, v1, v3, vcc_lo
	s_waitcnt lgkmcnt(3)
	v_lshrrev_b32_e32 v27, 16, v16
	v_lshrrev_b32_e32 v25, 16, v5
	;; [unrolled: 1-line block ×3, first 2 shown]
	s_waitcnt lgkmcnt(2)
	v_lshrrev_b32_e32 v28, 16, v19
	s_waitcnt lgkmcnt(1)
	v_lshrrev_b32_e32 v31, 16, v20
	;; [unrolled: 2-line block ×3, first 2 shown]
	v_lshrrev_b32_e32 v29, 16, v17
	v_lshrrev_b32_e32 v30, 16, v18
	;; [unrolled: 1-line block ×4, first 2 shown]
	v_add_co_u32 v2, vcc_lo, 0x800, v0
	v_add_co_ci_u32_e32 v3, vcc_lo, 0, v1, vcc_lo
	s_waitcnt vmcnt(2)
	v_mul_f16_sdwa v35, v6, v25 dst_sel:DWORD dst_unused:UNUSED_PAD src0_sel:WORD_1 src1_sel:DWORD
	s_waitcnt vmcnt(1)
	v_mul_f16_sdwa v36, v15, v26 dst_sel:DWORD dst_unused:UNUSED_PAD src0_sel:WORD_1 src1_sel:DWORD
	v_mul_f16_sdwa v37, v24, v15 dst_sel:DWORD dst_unused:UNUSED_PAD src0_sel:DWORD src1_sel:WORD_1
	v_mul_f16_sdwa v38, v6, v5 dst_sel:DWORD dst_unused:UNUSED_PAD src0_sel:WORD_1 src1_sel:DWORD
	v_mul_f16_sdwa v39, v7, v27 dst_sel:DWORD dst_unused:UNUSED_PAD src0_sel:WORD_1 src1_sel:DWORD
	;; [unrolled: 1-line block ×3, first 2 shown]
	v_mul_f16_sdwa v41, v19, v14 dst_sel:DWORD dst_unused:UNUSED_PAD src0_sel:DWORD src1_sel:WORD_1
	v_mul_f16_sdwa v42, v7, v16 dst_sel:DWORD dst_unused:UNUSED_PAD src0_sel:WORD_1 src1_sel:DWORD
	v_mul_f16_sdwa v47, v9, v31 dst_sel:DWORD dst_unused:UNUSED_PAD src0_sel:WORD_1 src1_sel:DWORD
	s_waitcnt vmcnt(0)
	v_mul_f16_sdwa v48, v12, v32 dst_sel:DWORD dst_unused:UNUSED_PAD src0_sel:WORD_1 src1_sel:DWORD
	v_mul_f16_sdwa v49, v23, v12 dst_sel:DWORD dst_unused:UNUSED_PAD src0_sel:DWORD src1_sel:WORD_1
	v_mul_f16_sdwa v50, v9, v20 dst_sel:DWORD dst_unused:UNUSED_PAD src0_sel:WORD_1 src1_sel:DWORD
	v_mul_f16_sdwa v43, v8, v29 dst_sel:DWORD dst_unused:UNUSED_PAD src0_sel:WORD_1 src1_sel:DWORD
	;; [unrolled: 1-line block ×3, first 2 shown]
	v_mul_f16_sdwa v45, v18, v13 dst_sel:DWORD dst_unused:UNUSED_PAD src0_sel:DWORD src1_sel:WORD_1
	v_mul_f16_sdwa v46, v8, v17 dst_sel:DWORD dst_unused:UNUSED_PAD src0_sel:WORD_1 src1_sel:DWORD
	v_mul_f16_sdwa v51, v10, v33 dst_sel:DWORD dst_unused:UNUSED_PAD src0_sel:WORD_1 src1_sel:DWORD
	;; [unrolled: 1-line block ×3, first 2 shown]
	v_mul_f16_sdwa v53, v22, v11 dst_sel:DWORD dst_unused:UNUSED_PAD src0_sel:DWORD src1_sel:WORD_1
	v_mul_f16_sdwa v54, v10, v21 dst_sel:DWORD dst_unused:UNUSED_PAD src0_sel:WORD_1 src1_sel:DWORD
	v_fmac_f16_e32 v35, v6, v5
	v_fmac_f16_e32 v36, v15, v24
	v_fma_f16 v15, v15, v26, -v37
	v_fma_f16 v5, v6, v25, -v38
	v_fmac_f16_e32 v39, v7, v16
	v_fmac_f16_e32 v40, v14, v19
	v_fma_f16 v14, v14, v28, -v41
	v_fma_f16 v6, v7, v27, -v42
	;; [unrolled: 4-line block ×5, first 2 shown]
	v_sub_f16_e32 v13, v35, v36
	v_add_f16_e32 v16, v5, v15
	v_sub_f16_e32 v17, v39, v40
	v_add_f16_e32 v18, v6, v14
	v_sub_f16_e32 v21, v47, v48
	v_add_f16_e32 v22, v9, v12
	v_add_f16_e32 v25, v35, v36
	v_sub_f16_e32 v26, v5, v15
	v_add_f16_e32 v35, v35, v4
	v_add_f16_sdwa v5, v5, v4 dst_sel:DWORD dst_unused:UNUSED_PAD src0_sel:DWORD src1_sel:WORD_1
	v_sub_f16_e32 v19, v43, v44
	v_add_f16_e32 v20, v8, v7
	v_sub_f16_e32 v23, v51, v52
	v_add_f16_e32 v24, v10, v11
	v_sub_f16_e32 v28, v6, v14
	v_mul_f16_e32 v38, 0x3853, v17
	v_mul_f16_e32 v42, 0x3b47, v21
	;; [unrolled: 1-line block ×16, first 2 shown]
	v_add_f16_e32 v35, v35, v39
	v_add_f16_e32 v5, v5, v6
	;; [unrolled: 1-line block ×4, first 2 shown]
	v_sub_f16_e32 v30, v8, v7
	v_mul_f16_e32 v37, 0xb482, v13
	v_mul_f16_e32 v41, 0xba0c, v19
	;; [unrolled: 1-line block ×19, first 2 shown]
	v_fmamk_f16 v90, v18, 0x3abb, v38
	v_fmamk_f16 v92, v22, 0x36a6, v42
	v_fma_f16 v18, v18, 0x3abb, -v38
	v_fma_f16 v22, v22, 0x36a6, -v42
	v_fmamk_f16 v38, v17, 0xbbeb, v56
	v_fmamk_f16 v42, v21, 0x3482, v58
	;; [unrolled: 1-line block ×6, first 2 shown]
	v_add_f16_e32 v35, v35, v43
	v_fmamk_f16 v43, v13, 0x3853, v85
	v_add_f16_e32 v8, v5, v8
	v_fmamk_f16 v124, v17, 0x3b47, v86
	v_fmac_f16_e32 v56, 0x3beb, v17
	v_fmac_f16_e32 v66, 0x3482, v17
	;; [unrolled: 1-line block ×4, first 2 shown]
	v_fmamk_f16 v17, v21, 0x3a0c, v88
	v_fmac_f16_e32 v58, 0xb482, v21
	v_fmac_f16_e32 v68, 0xb853, v21
	;; [unrolled: 1-line block ×4, first 2 shown]
	v_fmamk_f16 v21, v25, 0x3abb, v26
	v_sub_f16_e32 v32, v9, v12
	v_sub_f16_e32 v34, v10, v11
	v_mul_f16_e32 v50, 0xba0c, v30
	v_mul_f16_e32 v62, 0xb853, v30
	;; [unrolled: 1-line block ×5, first 2 shown]
	v_fmamk_f16 v39, v16, 0xbbad, v37
	v_fmamk_f16 v91, v20, 0xb93d, v41
	v_fmamk_f16 v93, v24, 0xb08e, v45
	v_fma_f16 v16, v16, 0xbbad, -v37
	v_fma_f16 v20, v20, 0xb93d, -v41
	;; [unrolled: 1-line block ×3, first 2 shown]
	v_fmamk_f16 v37, v13, 0x3a0c, v55
	v_fmamk_f16 v41, v19, 0x3853, v57
	;; [unrolled: 1-line block ×11, first 2 shown]
	v_fmac_f16_e32 v55, 0xba0c, v13
	v_fmac_f16_e32 v65, 0xbbeb, v13
	v_fmac_f16_e32 v75, 0xbb47, v13
	v_fmac_f16_e32 v85, 0xb853, v13
	v_fmamk_f16 v13, v19, 0x3beb, v87
	v_fmac_f16_e32 v57, 0xb853, v19
	v_fmac_f16_e32 v67, 0x3b47, v19
	v_fmac_f16_e32 v77, 0x3482, v19
	v_fmac_f16_e32 v87, 0xbbeb, v19
	v_fmamk_f16 v19, v23, 0x3482, v89
	;; [unrolled: 5-line block ×3, first 2 shown]
	v_fma_f16 v60, v25, 0xb93d, -v60
	v_fma_f16 v70, v25, 0xb08e, -v70
	v_add_f16_sdwa v43, v43, v4 dst_sel:DWORD dst_unused:UNUSED_PAD src0_sel:DWORD src1_sel:WORD_1
	v_add_f16_e32 v21, v21, v4
	v_add_f16_e32 v35, v35, v47
	;; [unrolled: 1-line block ×5, first 2 shown]
	v_mul_f16_e32 v53, 0x3b47, v32
	v_mul_f16_e32 v54, 0xbbeb, v34
	;; [unrolled: 1-line block ×10, first 2 shown]
	v_fma_f16 v94, v25, 0xbbad, -v46
	v_fmac_f16_e32 v46, 0xbbad, v25
	v_fmamk_f16 v119, v25, 0x36a6, v80
	v_fma_f16 v80, v25, 0x36a6, -v80
	v_fmamk_f16 v100, v27, 0xb08e, v61
	v_fmamk_f16 v110, v27, 0xbbad, v71
	v_fma_f16 v25, v25, 0x3abb, -v26
	v_fmamk_f16 v26, v29, 0xb08e, v30
	v_fma_f16 v61, v27, 0xb08e, -v61
	v_fma_f16 v71, v27, 0xbbad, -v71
	v_add_f16_sdwa v9, v55, v4 dst_sel:DWORD dst_unused:UNUSED_PAD src0_sel:DWORD src1_sel:WORD_1
	v_add_f16_e32 v47, v60, v4
	v_add_f16_sdwa v55, v65, v4 dst_sel:DWORD dst_unused:UNUSED_PAD src0_sel:DWORD src1_sel:WORD_1
	v_add_f16_e32 v60, v70, v4
	v_add_f16_e32 v43, v43, v124
	;; [unrolled: 1-line block ×5, first 2 shown]
	v_fma_f16 v95, v27, 0x3abb, -v49
	v_fma_f16 v96, v29, 0xb93d, -v50
	;; [unrolled: 1-line block ×4, first 2 shown]
	v_fmac_f16_e32 v49, 0x3abb, v27
	v_fmac_f16_e32 v50, 0xb93d, v29
	v_fmac_f16_e32 v53, 0x36a6, v31
	v_fmac_f16_e32 v54, 0xb08e, v33
	v_fmamk_f16 v101, v29, 0x3abb, v62
	v_fmamk_f16 v102, v31, 0xbbad, v63
	;; [unrolled: 1-line block ×10, first 2 shown]
	v_fma_f16 v81, v27, 0xb93d, -v81
	v_fma_f16 v27, v27, 0x36a6, -v28
	v_fmamk_f16 v28, v31, 0xb93d, v32
	v_fma_f16 v62, v29, 0x3abb, -v62
	v_fma_f16 v72, v29, 0x36a6, -v72
	;; [unrolled: 1-line block ×4, first 2 shown]
	v_fmamk_f16 v30, v33, 0xbbad, v34
	v_fma_f16 v63, v31, 0xbbad, -v63
	v_fma_f16 v64, v33, 0x36a6, -v64
	;; [unrolled: 1-line block ×8, first 2 shown]
	v_add_f16_sdwa v33, v39, v4 dst_sel:DWORD dst_unused:UNUSED_PAD src0_sel:DWORD src1_sel:WORD_1
	v_add_f16_e32 v34, v94, v4
	v_add_f16_sdwa v16, v16, v4 dst_sel:DWORD dst_unused:UNUSED_PAD src0_sel:DWORD src1_sel:WORD_1
	v_add_f16_e32 v39, v46, v4
	;; [unrolled: 2-line block ×6, first 2 shown]
	v_add_f16_e32 v9, v9, v56
	v_add_f16_e32 v10, v47, v61
	;; [unrolled: 1-line block ×8, first 2 shown]
	v_add_f16_sdwa v75, v85, v4 dst_sel:DWORD dst_unused:UNUSED_PAD src0_sel:DWORD src1_sel:WORD_1
	v_add_f16_e32 v4, v25, v4
	v_add_f16_e32 v25, v33, v90
	;; [unrolled: 1-line block ×77, first 2 shown]
	v_pack_b32_f16 v8, v9, v8
	v_pack_b32_f16 v9, v11, v10
	v_add_f16_e32 v11, v36, v19
	v_add_f16_e32 v7, v15, v7
	;; [unrolled: 1-line block ×4, first 2 shown]
	v_pack_b32_f16 v13, v17, v13
	v_pack_b32_f16 v16, v18, v16
	;; [unrolled: 1-line block ×3, first 2 shown]
	v_add_co_u32 v5, vcc_lo, 0x1000, v0
	v_pack_b32_f16 v14, v33, v31
	v_pack_b32_f16 v17, v29, v24
	v_add_co_ci_u32_e32 v6, vcc_lo, 0, v1, vcc_lo
	v_pack_b32_f16 v20, v22, v20
	v_pack_b32_f16 v10, v21, v12
	;; [unrolled: 1-line block ×4, first 2 shown]
	global_store_dword v[0:1], v13, off offset:468
	global_store_dword v[0:1], v14, off offset:936
	;; [unrolled: 1-line block ×9, first 2 shown]
	global_store_dword v[0:1], v7, off
	global_store_dword v[5:6], v4, off offset:584
.LBB0_25:
	s_endpgm
	.section	.rodata,"a",@progbits
	.p2align	6, 0x0
	.amdhsa_kernel fft_rtc_back_len1287_factors_3_13_3_11_wgs_117_tpt_117_half_ip_CI_unitstride_sbrr_dirReg
		.amdhsa_group_segment_fixed_size 0
		.amdhsa_private_segment_fixed_size 0
		.amdhsa_kernarg_size 88
		.amdhsa_user_sgpr_count 6
		.amdhsa_user_sgpr_private_segment_buffer 1
		.amdhsa_user_sgpr_dispatch_ptr 0
		.amdhsa_user_sgpr_queue_ptr 0
		.amdhsa_user_sgpr_kernarg_segment_ptr 1
		.amdhsa_user_sgpr_dispatch_id 0
		.amdhsa_user_sgpr_flat_scratch_init 0
		.amdhsa_user_sgpr_private_segment_size 0
		.amdhsa_wavefront_size32 1
		.amdhsa_uses_dynamic_stack 0
		.amdhsa_system_sgpr_private_segment_wavefront_offset 0
		.amdhsa_system_sgpr_workgroup_id_x 1
		.amdhsa_system_sgpr_workgroup_id_y 0
		.amdhsa_system_sgpr_workgroup_id_z 0
		.amdhsa_system_sgpr_workgroup_info 0
		.amdhsa_system_vgpr_workitem_id 0
		.amdhsa_next_free_vgpr 126
		.amdhsa_next_free_sgpr 21
		.amdhsa_reserve_vcc 1
		.amdhsa_reserve_flat_scratch 0
		.amdhsa_float_round_mode_32 0
		.amdhsa_float_round_mode_16_64 0
		.amdhsa_float_denorm_mode_32 3
		.amdhsa_float_denorm_mode_16_64 3
		.amdhsa_dx10_clamp 1
		.amdhsa_ieee_mode 1
		.amdhsa_fp16_overflow 0
		.amdhsa_workgroup_processor_mode 1
		.amdhsa_memory_ordered 1
		.amdhsa_forward_progress 0
		.amdhsa_shared_vgpr_count 0
		.amdhsa_exception_fp_ieee_invalid_op 0
		.amdhsa_exception_fp_denorm_src 0
		.amdhsa_exception_fp_ieee_div_zero 0
		.amdhsa_exception_fp_ieee_overflow 0
		.amdhsa_exception_fp_ieee_underflow 0
		.amdhsa_exception_fp_ieee_inexact 0
		.amdhsa_exception_int_div_zero 0
	.end_amdhsa_kernel
	.text
.Lfunc_end0:
	.size	fft_rtc_back_len1287_factors_3_13_3_11_wgs_117_tpt_117_half_ip_CI_unitstride_sbrr_dirReg, .Lfunc_end0-fft_rtc_back_len1287_factors_3_13_3_11_wgs_117_tpt_117_half_ip_CI_unitstride_sbrr_dirReg
                                        ; -- End function
	.section	.AMDGPU.csdata,"",@progbits
; Kernel info:
; codeLenInByte = 9712
; NumSgprs: 23
; NumVgprs: 126
; ScratchSize: 0
; MemoryBound: 0
; FloatMode: 240
; IeeeMode: 1
; LDSByteSize: 0 bytes/workgroup (compile time only)
; SGPRBlocks: 2
; VGPRBlocks: 15
; NumSGPRsForWavesPerEU: 23
; NumVGPRsForWavesPerEU: 126
; Occupancy: 8
; WaveLimiterHint : 1
; COMPUTE_PGM_RSRC2:SCRATCH_EN: 0
; COMPUTE_PGM_RSRC2:USER_SGPR: 6
; COMPUTE_PGM_RSRC2:TRAP_HANDLER: 0
; COMPUTE_PGM_RSRC2:TGID_X_EN: 1
; COMPUTE_PGM_RSRC2:TGID_Y_EN: 0
; COMPUTE_PGM_RSRC2:TGID_Z_EN: 0
; COMPUTE_PGM_RSRC2:TIDIG_COMP_CNT: 0
	.text
	.p2alignl 6, 3214868480
	.fill 48, 4, 3214868480
	.type	__hip_cuid_335109b42cb7f528,@object ; @__hip_cuid_335109b42cb7f528
	.section	.bss,"aw",@nobits
	.globl	__hip_cuid_335109b42cb7f528
__hip_cuid_335109b42cb7f528:
	.byte	0                               ; 0x0
	.size	__hip_cuid_335109b42cb7f528, 1

	.ident	"AMD clang version 19.0.0git (https://github.com/RadeonOpenCompute/llvm-project roc-6.4.0 25133 c7fe45cf4b819c5991fe208aaa96edf142730f1d)"
	.section	".note.GNU-stack","",@progbits
	.addrsig
	.addrsig_sym __hip_cuid_335109b42cb7f528
	.amdgpu_metadata
---
amdhsa.kernels:
  - .args:
      - .actual_access:  read_only
        .address_space:  global
        .offset:         0
        .size:           8
        .value_kind:     global_buffer
      - .offset:         8
        .size:           8
        .value_kind:     by_value
      - .actual_access:  read_only
        .address_space:  global
        .offset:         16
        .size:           8
        .value_kind:     global_buffer
      - .actual_access:  read_only
        .address_space:  global
        .offset:         24
        .size:           8
        .value_kind:     global_buffer
      - .offset:         32
        .size:           8
        .value_kind:     by_value
      - .actual_access:  read_only
        .address_space:  global
        .offset:         40
        .size:           8
        .value_kind:     global_buffer
      - .actual_access:  read_only
        .address_space:  global
        .offset:         48
        .size:           8
        .value_kind:     global_buffer
      - .offset:         56
        .size:           4
        .value_kind:     by_value
      - .actual_access:  read_only
        .address_space:  global
        .offset:         64
        .size:           8
        .value_kind:     global_buffer
      - .actual_access:  read_only
        .address_space:  global
        .offset:         72
        .size:           8
        .value_kind:     global_buffer
      - .address_space:  global
        .offset:         80
        .size:           8
        .value_kind:     global_buffer
    .group_segment_fixed_size: 0
    .kernarg_segment_align: 8
    .kernarg_segment_size: 88
    .language:       OpenCL C
    .language_version:
      - 2
      - 0
    .max_flat_workgroup_size: 117
    .name:           fft_rtc_back_len1287_factors_3_13_3_11_wgs_117_tpt_117_half_ip_CI_unitstride_sbrr_dirReg
    .private_segment_fixed_size: 0
    .sgpr_count:     23
    .sgpr_spill_count: 0
    .symbol:         fft_rtc_back_len1287_factors_3_13_3_11_wgs_117_tpt_117_half_ip_CI_unitstride_sbrr_dirReg.kd
    .uniform_work_group_size: 1
    .uses_dynamic_stack: false
    .vgpr_count:     126
    .vgpr_spill_count: 0
    .wavefront_size: 32
    .workgroup_processor_mode: 1
amdhsa.target:   amdgcn-amd-amdhsa--gfx1030
amdhsa.version:
  - 1
  - 2
...

	.end_amdgpu_metadata
